;; amdgpu-corpus repo=ROCm/rocFFT kind=compiled arch=gfx950 opt=O3
	.text
	.amdgcn_target "amdgcn-amd-amdhsa--gfx950"
	.amdhsa_code_object_version 6
	.protected	fft_rtc_fwd_len945_factors_3_3_3_5_7_wgs_63_tpt_63_halfLds_half_ip_CI_unitstride_sbrr_dirReg ; -- Begin function fft_rtc_fwd_len945_factors_3_3_3_5_7_wgs_63_tpt_63_halfLds_half_ip_CI_unitstride_sbrr_dirReg
	.globl	fft_rtc_fwd_len945_factors_3_3_3_5_7_wgs_63_tpt_63_halfLds_half_ip_CI_unitstride_sbrr_dirReg
	.p2align	8
	.type	fft_rtc_fwd_len945_factors_3_3_3_5_7_wgs_63_tpt_63_halfLds_half_ip_CI_unitstride_sbrr_dirReg,@function
fft_rtc_fwd_len945_factors_3_3_3_5_7_wgs_63_tpt_63_halfLds_half_ip_CI_unitstride_sbrr_dirReg: ; @fft_rtc_fwd_len945_factors_3_3_3_5_7_wgs_63_tpt_63_halfLds_half_ip_CI_unitstride_sbrr_dirReg
; %bb.0:
	s_load_dwordx2 s[8:9], s[0:1], 0x50
	s_load_dwordx4 s[4:7], s[0:1], 0x0
	s_load_dwordx2 s[10:11], s[0:1], 0x18
	v_mul_u32_u24_e32 v1, 0x411, v0
	v_add_u32_sdwa v6, s2, v1 dst_sel:DWORD dst_unused:UNUSED_PAD src0_sel:DWORD src1_sel:WORD_1
	v_mov_b32_e32 v4, 0
	s_waitcnt lgkmcnt(0)
	v_cmp_lt_u64_e64 s[2:3], s[6:7], 2
	v_mov_b32_e32 v7, v4
	s_and_b64 vcc, exec, s[2:3]
	v_mov_b64_e32 v[2:3], 0
	s_cbranch_vccnz .LBB0_8
; %bb.1:
	s_load_dwordx2 s[2:3], s[0:1], 0x10
	s_add_u32 s12, s10, 8
	s_addc_u32 s13, s11, 0
	s_mov_b64 s[14:15], 1
	v_mov_b64_e32 v[2:3], 0
	s_waitcnt lgkmcnt(0)
	s_add_u32 s16, s2, 8
	s_addc_u32 s17, s3, 0
.LBB0_2:                                ; =>This Inner Loop Header: Depth=1
	s_load_dwordx2 s[18:19], s[16:17], 0x0
                                        ; implicit-def: $vgpr8_vgpr9
	s_waitcnt lgkmcnt(0)
	v_or_b32_e32 v5, s19, v7
	v_cmp_ne_u64_e32 vcc, 0, v[4:5]
	s_and_saveexec_b64 s[2:3], vcc
	s_xor_b64 s[20:21], exec, s[2:3]
	s_cbranch_execz .LBB0_4
; %bb.3:                                ;   in Loop: Header=BB0_2 Depth=1
	v_cvt_f32_u32_e32 v1, s18
	v_cvt_f32_u32_e32 v5, s19
	s_sub_u32 s2, 0, s18
	s_subb_u32 s3, 0, s19
	v_fmac_f32_e32 v1, 0x4f800000, v5
	v_rcp_f32_e32 v1, v1
	s_nop 0
	v_mul_f32_e32 v1, 0x5f7ffffc, v1
	v_mul_f32_e32 v5, 0x2f800000, v1
	v_trunc_f32_e32 v5, v5
	v_fmac_f32_e32 v1, 0xcf800000, v5
	v_cvt_u32_f32_e32 v5, v5
	v_cvt_u32_f32_e32 v1, v1
	v_mul_lo_u32 v8, s2, v5
	v_mul_hi_u32 v10, s2, v1
	v_mul_lo_u32 v9, s3, v1
	v_add_u32_e32 v10, v10, v8
	v_mul_lo_u32 v12, s2, v1
	v_add_u32_e32 v13, v10, v9
	v_mul_hi_u32 v8, v1, v12
	v_mul_hi_u32 v11, v1, v13
	v_mul_lo_u32 v10, v1, v13
	v_mov_b32_e32 v9, v4
	v_lshl_add_u64 v[8:9], v[8:9], 0, v[10:11]
	v_mul_hi_u32 v11, v5, v12
	v_mul_lo_u32 v12, v5, v12
	v_add_co_u32_e32 v8, vcc, v8, v12
	v_mul_hi_u32 v10, v5, v13
	s_nop 0
	v_addc_co_u32_e32 v8, vcc, v9, v11, vcc
	v_mov_b32_e32 v9, v4
	s_nop 0
	v_addc_co_u32_e32 v11, vcc, 0, v10, vcc
	v_mul_lo_u32 v10, v5, v13
	v_lshl_add_u64 v[8:9], v[8:9], 0, v[10:11]
	v_add_co_u32_e32 v1, vcc, v1, v8
	v_mul_lo_u32 v10, s2, v1
	s_nop 0
	v_addc_co_u32_e32 v5, vcc, v5, v9, vcc
	v_mul_lo_u32 v8, s2, v5
	v_mul_hi_u32 v9, s2, v1
	v_add_u32_e32 v8, v9, v8
	v_mul_lo_u32 v9, s3, v1
	v_add_u32_e32 v12, v8, v9
	v_mul_hi_u32 v14, v5, v10
	v_mul_lo_u32 v15, v5, v10
	v_mul_hi_u32 v9, v1, v12
	v_mul_lo_u32 v8, v1, v12
	v_mul_hi_u32 v10, v1, v10
	v_mov_b32_e32 v11, v4
	v_lshl_add_u64 v[8:9], v[10:11], 0, v[8:9]
	v_add_co_u32_e32 v8, vcc, v8, v15
	v_mul_hi_u32 v13, v5, v12
	s_nop 0
	v_addc_co_u32_e32 v8, vcc, v9, v14, vcc
	v_mul_lo_u32 v10, v5, v12
	s_nop 0
	v_addc_co_u32_e32 v11, vcc, 0, v13, vcc
	v_mov_b32_e32 v9, v4
	v_lshl_add_u64 v[8:9], v[8:9], 0, v[10:11]
	v_add_co_u32_e32 v1, vcc, v1, v8
	v_mul_hi_u32 v10, v6, v1
	s_nop 0
	v_addc_co_u32_e32 v5, vcc, v5, v9, vcc
	v_mad_u64_u32 v[8:9], s[2:3], v6, v5, 0
	v_mov_b32_e32 v11, v4
	v_lshl_add_u64 v[8:9], v[10:11], 0, v[8:9]
	v_mad_u64_u32 v[12:13], s[2:3], v7, v1, 0
	v_add_co_u32_e32 v1, vcc, v8, v12
	v_mad_u64_u32 v[10:11], s[2:3], v7, v5, 0
	s_nop 0
	v_addc_co_u32_e32 v8, vcc, v9, v13, vcc
	v_mov_b32_e32 v9, v4
	s_nop 0
	v_addc_co_u32_e32 v11, vcc, 0, v11, vcc
	v_lshl_add_u64 v[8:9], v[8:9], 0, v[10:11]
	v_mul_lo_u32 v1, s19, v8
	v_mul_lo_u32 v5, s18, v9
	v_mad_u64_u32 v[10:11], s[2:3], s18, v8, 0
	v_add3_u32 v1, v11, v5, v1
	v_sub_u32_e32 v5, v7, v1
	v_mov_b32_e32 v11, s19
	v_sub_co_u32_e32 v14, vcc, v6, v10
	v_lshl_add_u64 v[12:13], v[8:9], 0, 1
	s_nop 0
	v_subb_co_u32_e64 v5, s[2:3], v5, v11, vcc
	v_subrev_co_u32_e64 v10, s[2:3], s18, v14
	v_subb_co_u32_e32 v1, vcc, v7, v1, vcc
	s_nop 0
	v_subbrev_co_u32_e64 v5, s[2:3], 0, v5, s[2:3]
	v_cmp_le_u32_e64 s[2:3], s19, v5
	v_cmp_le_u32_e32 vcc, s19, v1
	s_nop 0
	v_cndmask_b32_e64 v11, 0, -1, s[2:3]
	v_cmp_le_u32_e64 s[2:3], s18, v10
	s_nop 1
	v_cndmask_b32_e64 v10, 0, -1, s[2:3]
	v_cmp_eq_u32_e64 s[2:3], s19, v5
	s_nop 1
	v_cndmask_b32_e64 v5, v11, v10, s[2:3]
	v_lshl_add_u64 v[10:11], v[8:9], 0, 2
	v_cmp_ne_u32_e64 s[2:3], 0, v5
	s_nop 1
	v_cndmask_b32_e64 v5, v13, v11, s[2:3]
	v_cndmask_b32_e64 v11, 0, -1, vcc
	v_cmp_le_u32_e32 vcc, s18, v14
	s_nop 1
	v_cndmask_b32_e64 v13, 0, -1, vcc
	v_cmp_eq_u32_e32 vcc, s19, v1
	s_nop 1
	v_cndmask_b32_e32 v1, v11, v13, vcc
	v_cmp_ne_u32_e32 vcc, 0, v1
	v_cndmask_b32_e64 v1, v12, v10, s[2:3]
	s_nop 0
	v_cndmask_b32_e32 v9, v9, v5, vcc
	v_cndmask_b32_e32 v8, v8, v1, vcc
.LBB0_4:                                ;   in Loop: Header=BB0_2 Depth=1
	s_andn2_saveexec_b64 s[2:3], s[20:21]
	s_cbranch_execz .LBB0_6
; %bb.5:                                ;   in Loop: Header=BB0_2 Depth=1
	v_cvt_f32_u32_e32 v1, s18
	s_sub_i32 s20, 0, s18
	v_rcp_iflag_f32_e32 v1, v1
	s_nop 0
	v_mul_f32_e32 v1, 0x4f7ffffe, v1
	v_cvt_u32_f32_e32 v1, v1
	v_mul_lo_u32 v5, s20, v1
	v_mul_hi_u32 v5, v1, v5
	v_add_u32_e32 v1, v1, v5
	v_mul_hi_u32 v1, v6, v1
	v_mul_lo_u32 v5, v1, s18
	v_sub_u32_e32 v5, v6, v5
	v_add_u32_e32 v8, 1, v1
	v_subrev_u32_e32 v9, s18, v5
	v_cmp_le_u32_e32 vcc, s18, v5
	s_nop 1
	v_cndmask_b32_e32 v5, v5, v9, vcc
	v_cndmask_b32_e32 v1, v1, v8, vcc
	v_add_u32_e32 v8, 1, v1
	v_cmp_le_u32_e32 vcc, s18, v5
	v_mov_b32_e32 v9, v4
	s_nop 0
	v_cndmask_b32_e32 v8, v1, v8, vcc
.LBB0_6:                                ;   in Loop: Header=BB0_2 Depth=1
	s_or_b64 exec, exec, s[2:3]
	v_mad_u64_u32 v[10:11], s[2:3], v8, s18, 0
	s_load_dwordx2 s[2:3], s[12:13], 0x0
	v_mul_lo_u32 v1, v9, s18
	v_mul_lo_u32 v5, v8, s19
	v_add3_u32 v1, v11, v5, v1
	v_sub_co_u32_e32 v5, vcc, v6, v10
	s_add_u32 s14, s14, 1
	s_nop 0
	v_subb_co_u32_e32 v1, vcc, v7, v1, vcc
	s_addc_u32 s15, s15, 0
	s_waitcnt lgkmcnt(0)
	v_mul_lo_u32 v1, s2, v1
	v_mul_lo_u32 v6, s3, v5
	v_mad_u64_u32 v[2:3], s[2:3], s2, v5, v[2:3]
	s_add_u32 s12, s12, 8
	v_add3_u32 v3, v6, v3, v1
	s_addc_u32 s13, s13, 0
	v_mov_b64_e32 v[6:7], s[6:7]
	s_add_u32 s16, s16, 8
	v_cmp_ge_u64_e32 vcc, s[14:15], v[6:7]
	s_addc_u32 s17, s17, 0
	s_cbranch_vccnz .LBB0_9
; %bb.7:                                ;   in Loop: Header=BB0_2 Depth=1
	v_mov_b64_e32 v[6:7], v[8:9]
	s_branch .LBB0_2
.LBB0_8:
	v_mov_b64_e32 v[8:9], v[6:7]
.LBB0_9:
	s_lshl_b64 s[2:3], s[6:7], 3
	s_add_u32 s2, s10, s2
	s_addc_u32 s3, s11, s3
	s_load_dwordx2 s[6:7], s[2:3], 0x0
	s_load_dwordx2 s[10:11], s[0:1], 0x20
                                        ; implicit-def: $vgpr27
                                        ; implicit-def: $vgpr7
                                        ; implicit-def: $vgpr29
                                        ; implicit-def: $vgpr30
                                        ; implicit-def: $vgpr6
                                        ; implicit-def: $vgpr26
                                        ; implicit-def: $vgpr23
                                        ; implicit-def: $vgpr5
                                        ; implicit-def: $vgpr24
                                        ; implicit-def: $vgpr21
                                        ; implicit-def: $vgpr22
                                        ; implicit-def: $vgpr14
                                        ; implicit-def: $vgpr18
                                        ; implicit-def: $vgpr10
                                        ; implicit-def: $vgpr19
                                        ; implicit-def: $vgpr11
                                        ; implicit-def: $vgpr20
                                        ; implicit-def: $vgpr12
                                        ; implicit-def: $vgpr25
                                        ; implicit-def: $vgpr13
                                        ; implicit-def: $vgpr28
                                        ; implicit-def: $vgpr15
                                        ; implicit-def: $vgpr32
                                        ; implicit-def: $vgpr16
                                        ; implicit-def: $vgpr31
                                        ; implicit-def: $vgpr17
	s_waitcnt lgkmcnt(0)
	v_mad_u64_u32 v[2:3], s[0:1], s6, v8, v[2:3]
	v_mul_lo_u32 v1, s6, v9
	v_mul_lo_u32 v4, s7, v8
	s_mov_b32 s0, 0x4104105
	v_add3_u32 v3, v4, v3, v1
	v_mul_hi_u32 v1, v0, s0
	v_mul_u32_u24_e32 v1, 63, v1
	v_cmp_gt_u64_e32 vcc, s[10:11], v[8:9]
	v_sub_u32_e32 v0, v0, v1
	v_lshl_add_u64 v[2:3], v[2:3], 2, s[8:9]
                                        ; implicit-def: $vgpr1
                                        ; implicit-def: $vgpr4
                                        ; implicit-def: $vgpr8
                                        ; implicit-def: $vgpr9
	s_and_saveexec_b64 s[0:1], vcc
	s_cbranch_execz .LBB0_11
; %bb.10:
	v_mov_b32_e32 v1, 0
	v_lshl_add_u64 v[18:19], v[0:1], 2, v[2:3]
	global_load_dword v1, v[18:19], off offset:1260
	global_load_dword v7, v[18:19], off
	global_load_dword v6, v[18:19], off offset:2520
	global_load_dword v17, v[18:19], off offset:252
	;; [unrolled: 1-line block ×13, first 2 shown]
	s_waitcnt vmcnt(14)
	v_lshrrev_b32_e32 v29, 16, v1
	s_waitcnt vmcnt(13)
	v_lshrrev_b32_e32 v27, 16, v7
	;; [unrolled: 2-line block ×15, first 2 shown]
.LBB0_11:
	s_or_b64 exec, exec, s[0:1]
	v_add_f16_e32 v34, v1, v6
	v_add_f16_e32 v33, v7, v1
	v_fma_f16 v7, v34, -0.5, v7
	v_sub_f16_e32 v34, v29, v30
	s_movk_i32 s0, 0x3aee
	s_mov_b32 s1, 0xbaee
	v_fma_f16 v35, v34, s0, v7
	v_fma_f16 v7, v34, s1, v7
	v_add_f16_e32 v34, v27, v29
	v_add_f16_e32 v29, v29, v30
	v_fma_f16 v27, v29, -0.5, v27
	v_sub_f16_e32 v1, v1, v6
	v_add_f16_e32 v29, v4, v16
	v_add_f16_e32 v33, v33, v6
	v_fma_f16 v6, v1, s1, v27
	v_fma_f16 v27, v1, s0, v27
	v_add_f16_e32 v1, v4, v17
	v_fma_f16 v17, v29, -0.5, v17
	v_sub_f16_e32 v29, v26, v32
	v_add_f16_e32 v34, v34, v30
	v_fma_f16 v30, v29, s0, v17
	v_fma_f16 v17, v29, s1, v17
	v_add_f16_e32 v29, v26, v31
	v_add_f16_e32 v26, v26, v32
	v_fma_f16 v26, v26, -0.5, v31
	v_sub_f16_e32 v4, v4, v16
	v_add_f16_e32 v31, v5, v8
	v_add_f16_e32 v1, v16, v1
	v_fma_f16 v16, v4, s1, v26
	v_fma_f16 v4, v4, s0, v26
	v_add_f16_e32 v26, v5, v15
	v_fma_f16 v15, v31, -0.5, v15
	v_sub_f16_e32 v31, v23, v24
	v_add_f16_e32 v29, v32, v29
	v_fma_f16 v32, v31, s0, v15
	v_fma_f16 v15, v31, s1, v15
	v_add_f16_e32 v31, v23, v28
	v_add_f16_e32 v23, v23, v24
	;; [unrolled: 1-line block ×3, first 2 shown]
	v_fma_f16 v23, v23, -0.5, v28
	v_sub_f16_e32 v5, v5, v8
	v_add_f16_e32 v24, v14, v13
	v_add_f16_e32 v26, v8, v26
	v_fma_f16 v8, v5, s1, v23
	v_fma_f16 v5, v5, s0, v23
	v_add_f16_e32 v23, v9, v13
	v_fma_f16 v9, v24, -0.5, v9
	v_sub_f16_e32 v24, v25, v22
	v_fma_f16 v28, v24, s0, v9
	v_fma_f16 v9, v24, s1, v9
	v_add_f16_e32 v24, v21, v25
	v_add_f16_e32 v24, v22, v24
	;; [unrolled: 1-line block ×3, first 2 shown]
	v_fma_f16 v21, v22, -0.5, v21
	v_sub_f16_e32 v13, v13, v14
	v_add_f16_e32 v22, v10, v11
	v_add_f16_e32 v23, v14, v23
	v_fma_f16 v14, v13, s1, v21
	v_fma_f16 v13, v13, s0, v21
	v_add_f16_e32 v21, v11, v12
	v_fma_f16 v12, v22, -0.5, v12
	v_sub_f16_e32 v22, v19, v18
	v_fma_f16 v25, v22, s0, v12
	v_fma_f16 v12, v22, s1, v12
	v_add_f16_e32 v22, v19, v20
	v_add_f16_e32 v22, v18, v22
	v_add_f16_e32 v18, v18, v19
	v_add_f16_e32 v21, v10, v21
	v_fma_f16 v18, v18, -0.5, v20
	v_sub_f16_e32 v10, v11, v10
	v_fma_f16 v11, v10, s1, v18
	v_fma_f16 v10, v10, s0, v18
	v_mad_u32_u24 v18, v0, 6, 0
	ds_write_b16 v18, v33
	ds_write_b16 v18, v35 offset:2
	ds_write_b16 v18, v7 offset:4
	;; [unrolled: 1-line block ×14, first 2 shown]
	v_lshlrev_b32_e32 v1, 2, v0
	v_sub_u32_e32 v1, v18, v1
	s_movk_i32 s2, 0xab
	s_waitcnt lgkmcnt(0)
	; wave barrier
	s_waitcnt lgkmcnt(0)
	ds_read_u16 v7, v1 offset:882
	ds_read_u16 v19, v1
	ds_read_u16 v20, v1 offset:126
	ds_read_u16 v21, v1 offset:252
	;; [unrolled: 1-line block ×13, first 2 shown]
	s_waitcnt lgkmcnt(0)
	; wave barrier
	s_waitcnt lgkmcnt(0)
	ds_write_b16 v18, v34
	ds_write_b16 v18, v6 offset:2
	ds_write_b16 v18, v27 offset:4
	;; [unrolled: 1-line block ×14, first 2 shown]
	v_mul_lo_u16_sdwa v4, v0, s2 dst_sel:DWORD dst_unused:UNUSED_PAD src0_sel:BYTE_0 src1_sel:DWORD
	v_lshrrev_b16_e32 v18, 9, v4
	v_mul_lo_u16_e32 v4, 3, v18
	v_sub_u16_e32 v22, v0, v4
	v_mov_b32_e32 v24, 3
	v_lshlrev_b32_sdwa v4, v24, v22 dst_sel:DWORD dst_unused:UNUSED_PAD src0_sel:DWORD src1_sel:BYTE_0
	v_add_u16_e32 v5, 63, v0
	s_waitcnt lgkmcnt(0)
	; wave barrier
	s_waitcnt lgkmcnt(0)
	global_load_dwordx2 v[8:9], v4, s[4:5]
	v_mul_lo_u16_sdwa v4, v5, s2 dst_sel:DWORD dst_unused:UNUSED_PAD src0_sel:BYTE_0 src1_sel:DWORD
	v_lshrrev_b16_e32 v27, 9, v4
	v_mul_lo_u16_e32 v4, 3, v27
	v_sub_u16_e32 v29, v5, v4
	v_lshlrev_b32_sdwa v4, v24, v29 dst_sel:DWORD dst_unused:UNUSED_PAD src0_sel:DWORD src1_sel:BYTE_0
	global_load_dwordx2 v[10:11], v4, s[4:5]
	v_add_u32_e32 v4, 0x7e, v0
	v_mul_lo_u16_sdwa v6, v4, s2 dst_sel:DWORD dst_unused:UNUSED_PAD src0_sel:BYTE_0 src1_sel:DWORD
	v_lshrrev_b16_e32 v31, 9, v6
	v_mul_lo_u16_e32 v6, 3, v31
	v_sub_u16_e32 v34, v4, v6
	v_lshlrev_b32_sdwa v6, v24, v34 dst_sel:DWORD dst_unused:UNUSED_PAD src0_sel:DWORD src1_sel:BYTE_0
	v_add_u16_e32 v39, 0xbd, v0
	global_load_dwordx2 v[12:13], v6, s[4:5]
	v_mul_lo_u16_sdwa v6, v39, s2 dst_sel:DWORD dst_unused:UNUSED_PAD src0_sel:BYTE_0 src1_sel:DWORD
	v_lshrrev_b16_e32 v40, 9, v6
	v_mul_lo_u16_e32 v6, 3, v40
	v_sub_u16_e32 v41, v39, v6
	v_lshlrev_b32_sdwa v6, v24, v41 dst_sel:DWORD dst_unused:UNUSED_PAD src0_sel:DWORD src1_sel:BYTE_0
	v_add_u32_e32 v42, 0xfc, v0
	s_mov_b32 s2, 0xaaab
	global_load_dwordx2 v[14:15], v6, s[4:5]
	v_mul_u32_u24_sdwa v6, v42, s2 dst_sel:DWORD dst_unused:UNUSED_PAD src0_sel:WORD_0 src1_sel:DWORD
	v_lshrrev_b32_e32 v43, 17, v6
	v_mul_lo_u16_e32 v6, 3, v43
	v_sub_u16_e32 v44, v42, v6
	v_lshlrev_b32_e32 v6, 3, v44
	global_load_dwordx2 v[16:17], v6, s[4:5]
	ds_read_u16 v45, v1 offset:882
	ds_read_u16 v46, v1
	ds_read_u16 v47, v1 offset:126
	ds_read_u16 v48, v1 offset:252
	;; [unrolled: 1-line block ×13, first 2 shown]
	v_mov_b32_e32 v6, 1
	v_lshlrev_b32_sdwa v22, v6, v22 dst_sel:DWORD dst_unused:UNUSED_PAD src0_sel:DWORD src1_sel:BYTE_0
	v_lshlrev_b32_sdwa v29, v6, v29 dst_sel:DWORD dst_unused:UNUSED_PAD src0_sel:DWORD src1_sel:BYTE_0
	;; [unrolled: 1-line block ×3, first 2 shown]
	s_waitcnt lgkmcnt(0)
	; wave barrier
	s_waitcnt lgkmcnt(0)
	s_mov_b32 s2, 0xe38f
	s_movk_i32 s7, 0x3b9c
	s_mov_b32 s9, 0xbb9c
	s_movk_i32 s6, 0x38b4
	;; [unrolled: 2-line block ×3, first 2 shown]
	s_waitcnt vmcnt(4)
	v_mul_f16_sdwa v60, v52, v8 dst_sel:DWORD dst_unused:UNUSED_PAD src0_sel:DWORD src1_sel:WORD_1
	v_fma_f16 v60, v28, v8, -v60
	v_mul_f16_sdwa v28, v28, v8 dst_sel:DWORD dst_unused:UNUSED_PAD src0_sel:DWORD src1_sel:WORD_1
	v_fma_f16 v8, v52, v8, v28
	v_mul_f16_sdwa v28, v58, v9 dst_sel:DWORD dst_unused:UNUSED_PAD src0_sel:DWORD src1_sel:WORD_1
	v_fma_f16 v28, v37, v9, -v28
	v_mul_f16_sdwa v37, v37, v9 dst_sel:DWORD dst_unused:UNUSED_PAD src0_sel:DWORD src1_sel:WORD_1
	v_fma_f16 v9, v58, v9, v37
	s_waitcnt vmcnt(3)
	v_mul_f16_sdwa v37, v51, v10 dst_sel:DWORD dst_unused:UNUSED_PAD src0_sel:DWORD src1_sel:WORD_1
	v_fma_f16 v37, v26, v10, -v37
	v_mul_f16_sdwa v26, v26, v10 dst_sel:DWORD dst_unused:UNUSED_PAD src0_sel:DWORD src1_sel:WORD_1
	v_fma_f16 v10, v51, v10, v26
	v_mul_f16_sdwa v26, v57, v11 dst_sel:DWORD dst_unused:UNUSED_PAD src0_sel:DWORD src1_sel:WORD_1
	v_fma_f16 v26, v36, v11, -v26
	v_mul_f16_sdwa v36, v36, v11 dst_sel:DWORD dst_unused:UNUSED_PAD src0_sel:DWORD src1_sel:WORD_1
	v_fma_f16 v11, v57, v11, v36
	;; [unrolled: 9-line block ×3, first 2 shown]
	v_lshlrev_b32_sdwa v32, v6, v41 dst_sel:DWORD dst_unused:UNUSED_PAD src0_sel:DWORD src1_sel:BYTE_0
	s_waitcnt vmcnt(1)
	v_mul_f16_sdwa v41, v50, v14 dst_sel:DWORD dst_unused:UNUSED_PAD src0_sel:DWORD src1_sel:WORD_1
	v_fma_f16 v41, v25, v14, -v41
	v_mul_f16_sdwa v25, v25, v14 dst_sel:DWORD dst_unused:UNUSED_PAD src0_sel:DWORD src1_sel:WORD_1
	v_fma_f16 v14, v50, v14, v25
	v_mul_f16_sdwa v25, v55, v15 dst_sel:DWORD dst_unused:UNUSED_PAD src0_sel:DWORD src1_sel:WORD_1
	v_fma_f16 v25, v33, v15, -v25
	v_mul_f16_sdwa v33, v33, v15 dst_sel:DWORD dst_unused:UNUSED_PAD src0_sel:DWORD src1_sel:WORD_1
	v_fma_f16 v15, v55, v15, v33
	v_lshlrev_b32_e32 v33, 1, v44
	s_waitcnt vmcnt(0)
	v_mul_f16_sdwa v44, v59, v16 dst_sel:DWORD dst_unused:UNUSED_PAD src0_sel:DWORD src1_sel:WORD_1
	v_fma_f16 v44, v38, v16, -v44
	v_mul_f16_sdwa v38, v38, v16 dst_sel:DWORD dst_unused:UNUSED_PAD src0_sel:DWORD src1_sel:WORD_1
	v_fma_f16 v16, v59, v16, v38
	v_mul_f16_sdwa v38, v56, v17 dst_sel:DWORD dst_unused:UNUSED_PAD src0_sel:DWORD src1_sel:WORD_1
	v_fma_f16 v38, v35, v17, -v38
	v_mul_f16_sdwa v35, v35, v17 dst_sel:DWORD dst_unused:UNUSED_PAD src0_sel:DWORD src1_sel:WORD_1
	v_add_f16_e32 v45, v60, v28
	v_fma_f16 v17, v56, v17, v35
	v_add_f16_e32 v35, v19, v60
	v_fma_f16 v19, v45, -0.5, v19
	v_sub_f16_e32 v45, v8, v9
	v_fma_f16 v50, v45, s0, v19
	v_fma_f16 v19, v45, s1, v19
	v_add_f16_e32 v45, v46, v8
	v_add_f16_e32 v8, v8, v9
	v_add_f16_e32 v45, v45, v9
	v_fma_f16 v8, v8, -0.5, v46
	v_sub_f16_e32 v9, v60, v28
	v_add_f16_e32 v46, v37, v26
	v_add_f16_e32 v35, v35, v28
	v_fma_f16 v28, v9, s1, v8
	v_fma_f16 v8, v9, s0, v8
	v_add_f16_e32 v9, v20, v37
	v_fma_f16 v20, v46, -0.5, v20
	v_sub_f16_e32 v46, v10, v11
	v_fma_f16 v51, v46, s0, v20
	v_fma_f16 v20, v46, s1, v20
	v_add_f16_e32 v46, v47, v10
	v_add_f16_e32 v10, v10, v11
	v_add_f16_e32 v46, v46, v11
	v_fma_f16 v10, v10, -0.5, v47
	v_sub_f16_e32 v11, v37, v26
	v_add_f16_e32 v37, v36, v12
	v_add_f16_e32 v9, v9, v26
	v_fma_f16 v26, v11, s1, v10
	;; [unrolled: 14-line block ×4, first 2 shown]
	v_fma_f16 v14, v15, s0, v14
	v_add_f16_e32 v15, v30, v44
	v_fma_f16 v30, v41, -0.5, v30
	v_sub_f16_e32 v41, v16, v17
	v_fma_f16 v49, v41, s0, v30
	v_fma_f16 v30, v41, s1, v30
	v_add_f16_e32 v41, v53, v16
	v_add_f16_e32 v16, v16, v17
	;; [unrolled: 1-line block ×3, first 2 shown]
	v_fma_f16 v16, v16, -0.5, v53
	v_sub_f16_e32 v17, v44, v38
	v_add_f16_e32 v15, v15, v38
	v_fma_f16 v38, v17, s1, v16
	v_fma_f16 v16, v17, s0, v16
	v_mul_u32_u24_e32 v17, 18, v18
	v_mul_u32_u24_e32 v18, 18, v27
	v_add3_u32 v17, 0, v17, v22
	v_add3_u32 v18, 0, v18, v29
	ds_write_b16 v17, v35
	ds_write_b16 v17, v50 offset:6
	ds_write_b16 v17, v19 offset:12
	ds_write_b16 v18, v9
	ds_write_b16 v18, v51 offset:6
	ds_write_b16 v18, v20 offset:12
	v_mul_u32_u24_e32 v9, 18, v31
	v_add3_u32 v9, 0, v9, v34
	ds_write_b16 v9, v11
	ds_write_b16 v9, v47 offset:6
	ds_write_b16 v9, v21 offset:12
	v_mul_u32_u24_e32 v11, 18, v40
	v_add3_u32 v11, 0, v11, v32
	ds_write_b16 v11, v12
	ds_write_b16 v11, v48 offset:6
	ds_write_b16 v11, v23 offset:12
	v_mul_u32_u24_e32 v12, 18, v43
	v_add3_u32 v12, 0, v12, v33
	ds_write_b16 v12, v15
	ds_write_b16 v12, v49 offset:6
	ds_write_b16 v12, v30 offset:12
	s_waitcnt lgkmcnt(0)
	; wave barrier
	s_waitcnt lgkmcnt(0)
	ds_read_u16 v19, v1 offset:882
	ds_read_u16 v20, v1
	ds_read_u16 v21, v1 offset:126
	ds_read_u16 v22, v1 offset:252
	;; [unrolled: 1-line block ×13, first 2 shown]
	s_waitcnt lgkmcnt(0)
	; wave barrier
	s_waitcnt lgkmcnt(0)
	ds_write_b16 v17, v45
	ds_write_b16 v17, v28 offset:6
	ds_write_b16 v17, v8 offset:12
	ds_write_b16 v18, v46
	ds_write_b16 v18, v26 offset:6
	ds_write_b16 v18, v10 offset:12
	;; [unrolled: 3-line block ×5, first 2 shown]
	v_mov_b32_e32 v7, 57
	v_mul_lo_u16_sdwa v8, v0, v7 dst_sel:DWORD dst_unused:UNUSED_PAD src0_sel:BYTE_0 src1_sel:DWORD
	v_lshrrev_b16_e32 v18, 9, v8
	v_mul_lo_u16_e32 v8, 9, v18
	v_sub_u16_e32 v25, v0, v8
	v_lshlrev_b32_sdwa v8, v24, v25 dst_sel:DWORD dst_unused:UNUSED_PAD src0_sel:DWORD src1_sel:BYTE_0
	v_mul_lo_u16_sdwa v10, v5, v7 dst_sel:DWORD dst_unused:UNUSED_PAD src0_sel:BYTE_0 src1_sel:DWORD
	s_waitcnt lgkmcnt(0)
	; wave barrier
	s_waitcnt lgkmcnt(0)
	global_load_dwordx2 v[8:9], v8, s[4:5] offset:24
	v_lshrrev_b16_e32 v26, 9, v10
	v_mul_lo_u16_e32 v10, 9, v26
	v_sub_u16_e32 v28, v5, v10
	v_lshlrev_b32_sdwa v10, v24, v28 dst_sel:DWORD dst_unused:UNUSED_PAD src0_sel:DWORD src1_sel:BYTE_0
	global_load_dwordx2 v[10:11], v10, s[4:5] offset:24
	v_mul_lo_u16_sdwa v12, v4, v7 dst_sel:DWORD dst_unused:UNUSED_PAD src0_sel:BYTE_0 src1_sel:DWORD
	v_lshrrev_b16_e32 v36, 9, v12
	v_mul_lo_u16_e32 v12, 9, v36
	v_sub_u16_e32 v37, v4, v12
	v_lshlrev_b32_sdwa v12, v24, v37 dst_sel:DWORD dst_unused:UNUSED_PAD src0_sel:DWORD src1_sel:BYTE_0
	global_load_dwordx2 v[12:13], v12, s[4:5] offset:24
	v_mul_lo_u16_sdwa v7, v39, v7 dst_sel:DWORD dst_unused:UNUSED_PAD src0_sel:BYTE_0 src1_sel:DWORD
	v_lshrrev_b16_e32 v7, 9, v7
	v_mul_lo_u16_e32 v14, 9, v7
	v_sub_u16_e32 v38, v39, v14
	v_lshlrev_b32_sdwa v14, v24, v38 dst_sel:DWORD dst_unused:UNUSED_PAD src0_sel:DWORD src1_sel:BYTE_0
	global_load_dwordx2 v[14:15], v14, s[4:5] offset:24
	v_mul_u32_u24_sdwa v16, v42, s2 dst_sel:DWORD dst_unused:UNUSED_PAD src0_sel:WORD_0 src1_sel:DWORD
	v_lshrrev_b32_e32 v24, 19, v16
	v_mul_lo_u16_e32 v16, 9, v24
	v_sub_u16_e32 v39, v42, v16
	v_lshlrev_b32_e32 v16, 3, v39
	global_load_dwordx2 v[16:17], v16, s[4:5] offset:24
	ds_read_u16 v41, v1 offset:882
	ds_read_u16 v42, v1
	ds_read_u16 v44, v1 offset:126
	ds_read_u16 v45, v1 offset:252
	;; [unrolled: 1-line block ×13, first 2 shown]
	v_lshlrev_b32_sdwa v25, v6, v25 dst_sel:DWORD dst_unused:UNUSED_PAD src0_sel:DWORD src1_sel:BYTE_0
	v_lshlrev_b32_sdwa v28, v6, v28 dst_sel:DWORD dst_unused:UNUSED_PAD src0_sel:DWORD src1_sel:BYTE_0
	s_waitcnt lgkmcnt(0)
	; wave barrier
	s_waitcnt lgkmcnt(0)
	v_mul_u32_u24_e32 v7, 54, v7
	s_waitcnt vmcnt(4)
	v_mul_f16_sdwa v57, v49, v8 dst_sel:DWORD dst_unused:UNUSED_PAD src0_sel:DWORD src1_sel:WORD_1
	v_fma_f16 v57, v30, v8, -v57
	v_mul_f16_sdwa v30, v30, v8 dst_sel:DWORD dst_unused:UNUSED_PAD src0_sel:DWORD src1_sel:WORD_1
	v_fma_f16 v8, v49, v8, v30
	v_mul_f16_sdwa v30, v55, v9 dst_sel:DWORD dst_unused:UNUSED_PAD src0_sel:DWORD src1_sel:WORD_1
	v_fma_f16 v30, v40, v9, -v30
	v_mul_f16_sdwa v40, v40, v9 dst_sel:DWORD dst_unused:UNUSED_PAD src0_sel:DWORD src1_sel:WORD_1
	v_fma_f16 v9, v55, v9, v40
	s_waitcnt vmcnt(3)
	v_mul_f16_sdwa v40, v48, v10 dst_sel:DWORD dst_unused:UNUSED_PAD src0_sel:DWORD src1_sel:WORD_1
	v_fma_f16 v40, v29, v10, -v40
	v_mul_f16_sdwa v29, v29, v10 dst_sel:DWORD dst_unused:UNUSED_PAD src0_sel:DWORD src1_sel:WORD_1
	v_fma_f16 v10, v48, v10, v29
	v_mul_f16_sdwa v29, v54, v11 dst_sel:DWORD dst_unused:UNUSED_PAD src0_sel:DWORD src1_sel:WORD_1
	v_fma_f16 v29, v35, v11, -v29
	v_mul_f16_sdwa v35, v35, v11 dst_sel:DWORD dst_unused:UNUSED_PAD src0_sel:DWORD src1_sel:WORD_1
	v_fma_f16 v11, v54, v11, v35
	v_lshlrev_b32_sdwa v35, v6, v37 dst_sel:DWORD dst_unused:UNUSED_PAD src0_sel:DWORD src1_sel:BYTE_0
	s_waitcnt vmcnt(2)
	v_mul_f16_sdwa v37, v41, v12 dst_sel:DWORD dst_unused:UNUSED_PAD src0_sel:DWORD src1_sel:WORD_1
	v_fma_f16 v37, v19, v12, -v37
	v_mul_f16_sdwa v19, v19, v12 dst_sel:DWORD dst_unused:UNUSED_PAD src0_sel:DWORD src1_sel:WORD_1
	v_fma_f16 v12, v41, v12, v19
	v_mul_f16_sdwa v19, v51, v13 dst_sel:DWORD dst_unused:UNUSED_PAD src0_sel:DWORD src1_sel:WORD_1
	v_fma_f16 v19, v32, v13, -v19
	v_mul_f16_sdwa v32, v32, v13 dst_sel:DWORD dst_unused:UNUSED_PAD src0_sel:DWORD src1_sel:WORD_1
	v_fma_f16 v13, v51, v13, v32
	v_lshlrev_b32_sdwa v32, v6, v38 dst_sel:DWORD dst_unused:UNUSED_PAD src0_sel:DWORD src1_sel:BYTE_0
	s_waitcnt vmcnt(1)
	v_mul_f16_sdwa v38, v47, v14 dst_sel:DWORD dst_unused:UNUSED_PAD src0_sel:DWORD src1_sel:WORD_1
	v_fma_f16 v38, v27, v14, -v38
	v_mul_f16_sdwa v27, v27, v14 dst_sel:DWORD dst_unused:UNUSED_PAD src0_sel:DWORD src1_sel:WORD_1
	v_fma_f16 v14, v47, v14, v27
	v_mul_f16_sdwa v27, v52, v15 dst_sel:DWORD dst_unused:UNUSED_PAD src0_sel:DWORD src1_sel:WORD_1
	v_fma_f16 v27, v33, v15, -v27
	v_mul_f16_sdwa v33, v33, v15 dst_sel:DWORD dst_unused:UNUSED_PAD src0_sel:DWORD src1_sel:WORD_1
	v_fma_f16 v15, v52, v15, v33
	v_lshlrev_b32_e32 v33, 1, v39
	s_waitcnt vmcnt(0)
	v_mul_f16_sdwa v39, v56, v16 dst_sel:DWORD dst_unused:UNUSED_PAD src0_sel:DWORD src1_sel:WORD_1
	v_mul_f16_sdwa v41, v43, v16 dst_sel:DWORD dst_unused:UNUSED_PAD src0_sel:DWORD src1_sel:WORD_1
	v_fma_f16 v39, v43, v16, -v39
	v_fma_f16 v16, v56, v16, v41
	v_mul_f16_sdwa v41, v53, v17 dst_sel:DWORD dst_unused:UNUSED_PAD src0_sel:DWORD src1_sel:WORD_1
	v_fma_f16 v41, v34, v17, -v41
	v_mul_f16_sdwa v34, v34, v17 dst_sel:DWORD dst_unused:UNUSED_PAD src0_sel:DWORD src1_sel:WORD_1
	v_add_f16_e32 v43, v57, v30
	v_fma_f16 v17, v53, v17, v34
	v_add_f16_e32 v34, v20, v57
	v_fma_f16 v20, v43, -0.5, v20
	v_sub_f16_e32 v43, v8, v9
	v_fma_f16 v47, v43, s0, v20
	v_fma_f16 v20, v43, s1, v20
	v_add_f16_e32 v43, v42, v8
	v_add_f16_e32 v8, v8, v9
	v_add_f16_e32 v43, v43, v9
	v_fma_f16 v8, v8, -0.5, v42
	v_sub_f16_e32 v9, v57, v30
	v_add_f16_e32 v42, v40, v29
	v_add_f16_e32 v34, v34, v30
	v_fma_f16 v30, v9, s1, v8
	v_fma_f16 v8, v9, s0, v8
	v_add_f16_e32 v9, v21, v40
	v_fma_f16 v21, v42, -0.5, v21
	v_sub_f16_e32 v42, v10, v11
	v_fma_f16 v48, v42, s0, v21
	v_fma_f16 v21, v42, s1, v21
	v_add_f16_e32 v42, v44, v10
	v_add_f16_e32 v10, v10, v11
	v_add_f16_e32 v42, v42, v11
	v_fma_f16 v10, v10, -0.5, v44
	v_sub_f16_e32 v11, v40, v29
	v_add_f16_e32 v40, v37, v19
	v_add_f16_e32 v9, v9, v29
	v_fma_f16 v29, v11, s1, v10
	;; [unrolled: 14-line block ×4, first 2 shown]
	v_fma_f16 v14, v15, s0, v14
	v_add_f16_e32 v15, v31, v39
	v_fma_f16 v31, v38, -0.5, v31
	v_sub_f16_e32 v38, v16, v17
	v_fma_f16 v46, v38, s0, v31
	v_fma_f16 v31, v38, s1, v31
	v_add_f16_e32 v38, v50, v16
	v_add_f16_e32 v16, v16, v17
	;; [unrolled: 1-line block ×3, first 2 shown]
	v_fma_f16 v16, v16, -0.5, v50
	v_sub_f16_e32 v17, v39, v41
	v_fma_f16 v39, v17, s1, v16
	v_fma_f16 v16, v17, s0, v16
	v_mul_u32_u24_e32 v17, 54, v18
	v_mul_u32_u24_e32 v18, 54, v26
	v_add3_u32 v17, 0, v17, v25
	v_add3_u32 v18, 0, v18, v28
	ds_write_b16 v17, v34
	ds_write_b16 v17, v47 offset:18
	ds_write_b16 v17, v20 offset:36
	ds_write_b16 v18, v9
	ds_write_b16 v18, v48 offset:18
	ds_write_b16 v18, v21 offset:36
	v_mul_u32_u24_e32 v9, 54, v36
	v_add3_u32 v9, 0, v9, v35
	ds_write_b16 v9, v11
	ds_write_b16 v9, v44 offset:18
	ds_write_b16 v9, v22 offset:36
	v_mul_u32_u24_e32 v11, 54, v24
	v_add_f16_e32 v15, v15, v41
	v_add3_u32 v7, 0, v7, v32
	v_add3_u32 v11, 0, v11, v33
	ds_write_b16 v7, v13
	ds_write_b16 v7, v45 offset:18
	ds_write_b16 v7, v23 offset:36
	ds_write_b16 v11, v15
	ds_write_b16 v11, v46 offset:18
	ds_write_b16 v11, v31 offset:36
	s_waitcnt lgkmcnt(0)
	; wave barrier
	s_waitcnt lgkmcnt(0)
	ds_read_u16 v13, v1
	ds_read_u16 v28, v1 offset:126
	ds_read_u16 v21, v1 offset:882
	;; [unrolled: 1-line block ×14, first 2 shown]
	s_waitcnt lgkmcnt(0)
	; wave barrier
	s_waitcnt lgkmcnt(0)
	ds_write_b16 v17, v43
	ds_write_b16 v17, v30 offset:18
	ds_write_b16 v17, v8 offset:36
	ds_write_b16 v18, v42
	ds_write_b16 v18, v29 offset:18
	ds_write_b16 v18, v10 offset:36
	;; [unrolled: 3-line block ×5, first 2 shown]
	v_mov_b32_e32 v7, 19
	v_mul_lo_u16_sdwa v8, v0, v7 dst_sel:DWORD dst_unused:UNUSED_PAD src0_sel:BYTE_0 src1_sel:DWORD
	v_lshrrev_b16_e32 v18, 9, v8
	v_mul_lo_u16_e32 v8, 27, v18
	v_sub_u16_e32 v19, v0, v8
	v_mov_b32_e32 v12, 4
	v_lshlrev_b32_sdwa v8, v12, v19 dst_sel:DWORD dst_unused:UNUSED_PAD src0_sel:DWORD src1_sel:BYTE_0
	s_waitcnt lgkmcnt(0)
	; wave barrier
	s_waitcnt lgkmcnt(0)
	global_load_dwordx4 v[8:11], v8, s[4:5] offset:96
	v_mul_lo_u16_sdwa v14, v5, v7 dst_sel:DWORD dst_unused:UNUSED_PAD src0_sel:BYTE_0 src1_sel:DWORD
	v_lshrrev_b16_e32 v29, 9, v14
	v_mul_lo_u16_e32 v14, 27, v29
	v_sub_u16_e32 v30, v5, v14
	v_lshlrev_b32_sdwa v5, v12, v30 dst_sel:DWORD dst_unused:UNUSED_PAD src0_sel:DWORD src1_sel:BYTE_0
	global_load_dwordx4 v[14:17], v5, s[4:5] offset:96
	v_mul_lo_u16_sdwa v5, v4, v7 dst_sel:DWORD dst_unused:UNUSED_PAD src0_sel:BYTE_0 src1_sel:DWORD
	v_lshrrev_b16_e32 v7, 9, v5
	v_mul_lo_u16_e32 v5, 27, v7
	v_sub_u16_e32 v57, v4, v5
	v_lshlrev_b32_sdwa v5, v12, v57 dst_sel:DWORD dst_unused:UNUSED_PAD src0_sel:DWORD src1_sel:BYTE_0
	global_load_dwordx4 v[24:27], v5, s[4:5] offset:96
	ds_read_u16 v23, v1
	ds_read_u16 v12, v1 offset:126
	ds_read_u16 v5, v1 offset:882
	;; [unrolled: 1-line block ×14, first 2 shown]
	v_mul_u32_u24_e32 v18, 0x10e, v18
	v_lshlrev_b32_sdwa v19, v6, v19 dst_sel:DWORD dst_unused:UNUSED_PAD src0_sel:DWORD src1_sel:BYTE_0
	s_waitcnt lgkmcnt(0)
	; wave barrier
	s_waitcnt lgkmcnt(0)
	v_mul_u32_u24_e32 v7, 0x10e, v7
	v_cmp_gt_u32_e64 s[0:1], 9, v0
	s_waitcnt vmcnt(2)
	v_mul_f16_sdwa v44, v40, v8 dst_sel:DWORD dst_unused:UNUSED_PAD src0_sel:DWORD src1_sel:WORD_1
	v_fma_f16 v48, v33, v8, -v44
	v_mul_f16_sdwa v33, v33, v8 dst_sel:DWORD dst_unused:UNUSED_PAD src0_sel:DWORD src1_sel:WORD_1
	v_fma_f16 v40, v40, v8, v33
	v_mul_f16_sdwa v8, v37, v9 dst_sel:DWORD dst_unused:UNUSED_PAD src0_sel:DWORD src1_sel:WORD_1
	v_fma_f16 v50, v22, v9, -v8
	v_mul_f16_sdwa v8, v22, v9 dst_sel:DWORD dst_unused:UNUSED_PAD src0_sel:DWORD src1_sel:WORD_1
	v_fma_f16 v44, v37, v9, v8
	v_mul_f16_sdwa v8, v43, v10 dst_sel:DWORD dst_unused:UNUSED_PAD src0_sel:DWORD src1_sel:WORD_1
	v_fma_f16 v51, v36, v10, -v8
	v_mul_f16_sdwa v8, v36, v10 dst_sel:DWORD dst_unused:UNUSED_PAD src0_sel:DWORD src1_sel:WORD_1
	v_fma_f16 v45, v43, v10, v8
	v_mul_f16_sdwa v8, v41, v11 dst_sel:DWORD dst_unused:UNUSED_PAD src0_sel:DWORD src1_sel:WORD_1
	v_fma_f16 v52, v35, v11, -v8
	v_mul_f16_sdwa v8, v35, v11 dst_sel:DWORD dst_unused:UNUSED_PAD src0_sel:DWORD src1_sel:WORD_1
	v_fma_f16 v47, v41, v11, v8
	s_waitcnt vmcnt(1)
	v_mul_f16_sdwa v8, v39, v14 dst_sel:DWORD dst_unused:UNUSED_PAD src0_sel:DWORD src1_sel:WORD_1
	v_fma_f16 v41, v32, v14, -v8
	v_mul_f16_sdwa v8, v32, v14 dst_sel:DWORD dst_unused:UNUSED_PAD src0_sel:DWORD src1_sel:WORD_1
	v_fma_f16 v33, v39, v14, v8
	v_mul_f16_sdwa v8, v5, v15 dst_sel:DWORD dst_unused:UNUSED_PAD src0_sel:DWORD src1_sel:WORD_1
	v_fma_f16 v43, v21, v15, -v8
	v_mul_f16_sdwa v8, v21, v15 dst_sel:DWORD dst_unused:UNUSED_PAD src0_sel:DWORD src1_sel:WORD_1
	v_fma_f16 v36, v5, v15, v8
	v_mul_f16_sdwa v5, v60, v16 dst_sel:DWORD dst_unused:UNUSED_PAD src0_sel:DWORD src1_sel:WORD_1
	v_fma_f16 v46, v49, v16, -v5
	v_mul_f16_sdwa v5, v49, v16 dst_sel:DWORD dst_unused:UNUSED_PAD src0_sel:DWORD src1_sel:WORD_1
	v_fma_f16 v37, v60, v16, v5
	v_mul_f16_sdwa v5, v42, v17 dst_sel:DWORD dst_unused:UNUSED_PAD src0_sel:DWORD src1_sel:WORD_1
	v_fma_f16 v49, v34, v17, -v5
	v_mul_f16_sdwa v5, v34, v17 dst_sel:DWORD dst_unused:UNUSED_PAD src0_sel:DWORD src1_sel:WORD_1
	v_fma_f16 v39, v42, v17, v5
	;; [unrolled: 17-line block ×3, first 2 shown]
	v_add_f16_e32 v5, v13, v48
	v_add_f16_e32 v5, v5, v50
	;; [unrolled: 1-line block ×5, first 2 shown]
	v_fma_f16 v5, v5, -0.5, v13
	v_sub_f16_e32 v9, v40, v47
	v_fma_f16 v10, v9, s7, v5
	v_sub_f16_e32 v11, v44, v45
	v_sub_f16_e32 v14, v48, v50
	;; [unrolled: 1-line block ×3, first 2 shown]
	v_fma_f16 v5, v9, s9, v5
	v_fma_f16 v10, v11, s6, v10
	v_add_f16_e32 v14, v14, v15
	v_fma_f16 v5, v11, s10, v5
	v_fma_f16 v10, v14, s8, v10
	;; [unrolled: 1-line block ×3, first 2 shown]
	v_add_f16_e32 v5, v48, v52
	v_fma_f16 v5, v5, -0.5, v13
	v_fma_f16 v13, v11, s9, v5
	v_sub_f16_e32 v15, v50, v48
	v_sub_f16_e32 v16, v51, v52
	v_fma_f16 v5, v11, s7, v5
	v_add_f16_e32 v15, v15, v16
	v_fma_f16 v5, v9, s10, v5
	v_fma_f16 v13, v9, s6, v13
	;; [unrolled: 1-line block ×3, first 2 shown]
	v_add_f16_e32 v5, v28, v41
	v_add_f16_e32 v5, v5, v43
	;; [unrolled: 1-line block ×5, first 2 shown]
	v_fma_f16 v13, v15, s8, v13
	v_fma_f16 v5, v5, -0.5, v28
	v_sub_f16_e32 v15, v33, v39
	v_fma_f16 v16, v15, s7, v5
	v_sub_f16_e32 v17, v36, v37
	v_sub_f16_e32 v26, v41, v43
	;; [unrolled: 1-line block ×3, first 2 shown]
	v_fma_f16 v5, v15, s9, v5
	v_fma_f16 v16, v17, s6, v16
	v_add_f16_e32 v26, v26, v27
	v_fma_f16 v5, v17, s10, v5
	v_fma_f16 v16, v26, s8, v16
	;; [unrolled: 1-line block ×3, first 2 shown]
	v_add_f16_e32 v5, v41, v49
	v_fma_f16 v5, v5, -0.5, v28
	v_fma_f16 v27, v17, s9, v5
	v_sub_f16_e32 v28, v43, v41
	v_sub_f16_e32 v31, v46, v49
	v_fma_f16 v5, v17, s7, v5
	v_add_f16_e32 v28, v28, v31
	v_fma_f16 v5, v15, s10, v5
	v_fma_f16 v27, v15, s6, v27
	;; [unrolled: 1-line block ×3, first 2 shown]
	v_add_f16_e32 v5, v53, v34
	v_add_f16_e32 v5, v5, v35
	;; [unrolled: 1-line block ×5, first 2 shown]
	v_fma_f16 v27, v28, s8, v27
	v_fma_f16 v5, v5, -0.5, v53
	v_sub_f16_e32 v28, v21, v25
	v_fma_f16 v31, v28, s7, v5
	v_sub_f16_e32 v32, v22, v24
	v_sub_f16_e32 v54, v34, v35
	;; [unrolled: 1-line block ×3, first 2 shown]
	v_fma_f16 v5, v28, s9, v5
	v_fma_f16 v31, v32, s6, v31
	v_add_f16_e32 v54, v54, v55
	v_fma_f16 v5, v32, s10, v5
	v_fma_f16 v31, v54, s8, v31
	;; [unrolled: 1-line block ×3, first 2 shown]
	v_add_f16_e32 v54, v34, v42
	v_fma_f16 v53, v54, -0.5, v53
	v_fma_f16 v54, v32, s9, v53
	v_sub_f16_e32 v55, v35, v34
	v_sub_f16_e32 v56, v38, v42
	v_fma_f16 v32, v32, s7, v53
	v_add3_u32 v53, 0, v18, v19
	v_fma_f16 v54, v28, s6, v54
	v_add_f16_e32 v55, v55, v56
	v_fma_f16 v28, v28, s10, v32
	ds_write_b16 v53, v8
	ds_write_b16 v53, v10 offset:54
	ds_write_b16 v53, v13 offset:108
	;; [unrolled: 1-line block ×4, first 2 shown]
	v_mul_u32_u24_e32 v8, 0x10e, v29
	v_lshlrev_b32_sdwa v9, v6, v30 dst_sel:DWORD dst_unused:UNUSED_PAD src0_sel:DWORD src1_sel:BYTE_0
	v_lshlrev_b32_sdwa v6, v6, v57 dst_sel:DWORD dst_unused:UNUSED_PAD src0_sel:DWORD src1_sel:BYTE_0
	v_fma_f16 v56, v55, s8, v54
	v_fma_f16 v28, v55, s8, v28
	v_add3_u32 v54, 0, v8, v9
	v_add3_u32 v55, 0, v7, v6
	ds_write_b16 v54, v11
	ds_write_b16 v54, v16 offset:54
	ds_write_b16 v54, v27 offset:108
	ds_write_b16 v54, v15 offset:162
	ds_write_b16 v54, v26 offset:216
	ds_write_b16 v55, v17
	ds_write_b16 v55, v31 offset:54
	ds_write_b16 v55, v56 offset:108
	;; [unrolled: 1-line block ×4, first 2 shown]
	s_waitcnt lgkmcnt(0)
	; wave barrier
	s_waitcnt lgkmcnt(0)
	ds_read_u16 v13, v1
	ds_read_u16 v14, v1 offset:1080
	ds_read_u16 v27, v1 offset:936
	;; [unrolled: 1-line block ×13, first 2 shown]
                                        ; implicit-def: $vgpr8
                                        ; implicit-def: $vgpr9
                                        ; implicit-def: $vgpr7
                                        ; implicit-def: $vgpr6
                                        ; implicit-def: $vgpr10
                                        ; implicit-def: $vgpr11
	s_and_saveexec_b64 s[2:3], s[0:1]
	s_cbranch_execz .LBB0_13
; %bb.12:
	ds_read_u16 v5, v1 offset:252
	ds_read_u16 v8, v1 offset:522
	;; [unrolled: 1-line block ×7, first 2 shown]
.LBB0_13:
	s_or_b64 exec, exec, s[2:3]
	v_add_f16_e32 v57, v44, v45
	v_fma_f16 v57, v57, -0.5, v23
	v_sub_f16_e32 v48, v48, v52
	v_fma_f16 v52, v48, s9, v57
	v_sub_f16_e32 v50, v50, v51
	v_add_f16_e32 v56, v23, v40
	v_fma_f16 v51, v50, s10, v52
	v_sub_f16_e32 v52, v40, v44
	v_sub_f16_e32 v58, v47, v45
	v_fma_f16 v57, v48, s7, v57
	v_add_f16_e32 v56, v56, v44
	v_add_f16_e32 v52, v52, v58
	v_fma_f16 v57, v50, s6, v57
	v_add_f16_e32 v56, v56, v45
	v_fma_f16 v51, v52, s8, v51
	v_fma_f16 v52, v52, s8, v57
	v_add_f16_e32 v57, v40, v47
	v_sub_f16_e32 v40, v44, v40
	v_sub_f16_e32 v44, v45, v47
	v_add_f16_e32 v45, v36, v37
	v_fma_f16 v23, v57, -0.5, v23
	v_fma_f16 v45, v45, -0.5, v12
	v_sub_f16_e32 v41, v41, v49
	v_add_f16_e32 v56, v56, v47
	v_fma_f16 v57, v50, s7, v23
	v_fma_f16 v23, v50, s9, v23
	;; [unrolled: 1-line block ×3, first 2 shown]
	v_sub_f16_e32 v43, v43, v46
	v_fma_f16 v57, v48, s10, v57
	v_fma_f16 v23, v48, s6, v23
	;; [unrolled: 1-line block ×3, first 2 shown]
	v_sub_f16_e32 v47, v33, v36
	v_sub_f16_e32 v48, v39, v37
	v_fma_f16 v45, v41, s7, v45
	v_add_f16_e32 v47, v47, v48
	v_fma_f16 v45, v43, s6, v45
	v_add_f16_e32 v40, v40, v44
	v_fma_f16 v46, v47, s8, v46
	v_fma_f16 v45, v47, s8, v45
	v_add_f16_e32 v47, v33, v39
	v_fma_f16 v44, v40, s8, v57
	v_fma_f16 v23, v40, s8, v23
	v_add_f16_e32 v40, v12, v33
	v_fma_f16 v12, v47, -0.5, v12
	v_add_f16_e32 v40, v40, v36
	v_fma_f16 v47, v43, s7, v12
	v_sub_f16_e32 v33, v36, v33
	v_sub_f16_e32 v36, v37, v39
	v_fma_f16 v12, v43, s9, v12
	v_fma_f16 v47, v41, s10, v47
	v_add_f16_e32 v33, v33, v36
	v_fma_f16 v12, v41, s6, v12
	v_fma_f16 v36, v33, s8, v47
	;; [unrolled: 1-line block ×3, first 2 shown]
	v_add_f16_e32 v12, v20, v21
	v_add_f16_e32 v12, v12, v22
	;; [unrolled: 1-line block ×6, first 2 shown]
	v_fma_f16 v12, v12, -0.5, v20
	v_sub_f16_e32 v34, v34, v42
	v_add_f16_e32 v40, v40, v39
	v_fma_f16 v39, v34, s9, v12
	v_sub_f16_e32 v35, v35, v38
	v_fma_f16 v38, v35, s10, v39
	v_sub_f16_e32 v39, v21, v22
	v_sub_f16_e32 v41, v25, v24
	v_fma_f16 v12, v34, s7, v12
	v_add_f16_e32 v39, v39, v41
	v_fma_f16 v12, v35, s6, v12
	v_fma_f16 v38, v39, s8, v38
	;; [unrolled: 1-line block ×3, first 2 shown]
	v_add_f16_e32 v39, v21, v25
	v_fma_f16 v20, v39, -0.5, v20
	v_fma_f16 v39, v35, s7, v20
	v_sub_f16_e32 v21, v22, v21
	v_sub_f16_e32 v22, v24, v25
	v_fma_f16 v20, v35, s9, v20
	v_fma_f16 v39, v34, s10, v39
	v_add_f16_e32 v21, v21, v22
	v_fma_f16 v20, v34, s6, v20
	v_fma_f16 v22, v21, s8, v39
	;; [unrolled: 1-line block ×3, first 2 shown]
	s_waitcnt lgkmcnt(0)
	; wave barrier
	s_waitcnt lgkmcnt(0)
	ds_write_b16 v53, v56
	ds_write_b16 v53, v51 offset:54
	ds_write_b16 v53, v44 offset:108
	ds_write_b16 v53, v23 offset:162
	ds_write_b16 v53, v52 offset:216
	ds_write_b16 v54, v40
	ds_write_b16 v54, v46 offset:54
	ds_write_b16 v54, v36 offset:108
	ds_write_b16 v54, v33 offset:162
	ds_write_b16 v54, v45 offset:216
	;; [unrolled: 5-line block ×3, first 2 shown]
	s_waitcnt lgkmcnt(0)
	; wave barrier
	s_waitcnt lgkmcnt(0)
	ds_read_u16 v33, v1
	ds_read_u16 v34, v1 offset:1080
	ds_read_u16 v42, v1 offset:936
	;; [unrolled: 1-line block ×13, first 2 shown]
                                        ; implicit-def: $vgpr22
                                        ; implicit-def: $vgpr23
                                        ; implicit-def: $vgpr21
                                        ; implicit-def: $vgpr20
                                        ; implicit-def: $vgpr24
                                        ; implicit-def: $vgpr25
	s_and_saveexec_b64 s[2:3], s[0:1]
	s_cbranch_execz .LBB0_15
; %bb.14:
	ds_read_u16 v12, v1 offset:252
	ds_read_u16 v22, v1 offset:522
	;; [unrolled: 1-line block ×7, first 2 shown]
.LBB0_15:
	s_or_b64 exec, exec, s[2:3]
	s_and_saveexec_b64 s[2:3], vcc
	s_cbranch_execz .LBB0_18
; %bb.16:
	v_mul_u32_u24_e32 v1, 6, v0
	v_lshlrev_b32_e32 v1, 2, v1
	v_add_u32_e32 v47, 0x5e8, v1
	global_load_dwordx4 v[48:51], v47, s[4:5] offset:528
	global_load_dwordx2 v[56:57], v47, s[4:5] offset:544
	global_load_dwordx4 v[52:55], v1, s[4:5] offset:528
	global_load_dwordx2 v[58:59], v1, s[4:5] offset:544
	s_movk_i32 s3, 0x3574
	s_movk_i32 s12, 0x3a52
	s_mov_b32 s6, 0xbcab
	s_movk_i32 s8, 0x3b00
	s_mov_b32 s9, 0xb574
	s_mov_b32 s10, 0xb9e0
	s_movk_i32 s11, 0x39e0
	s_movk_i32 s2, 0x370e
	;; [unrolled: 1-line block ×3, first 2 shown]
	s_waitcnt vmcnt(3) lgkmcnt(7)
	v_mul_f16_sdwa v1, v43, v48 dst_sel:DWORD dst_unused:UNUSED_PAD src0_sel:DWORD src1_sel:WORD_1
	s_waitcnt vmcnt(2) lgkmcnt(4)
	v_mul_f16_sdwa v47, v45, v57 dst_sel:DWORD dst_unused:UNUSED_PAD src0_sel:DWORD src1_sel:WORD_1
	s_waitcnt lgkmcnt(0)
	v_mul_f16_sdwa v60, v46, v51 dst_sel:DWORD dst_unused:UNUSED_PAD src0_sel:DWORD src1_sel:WORD_1
	v_mul_f16_sdwa v61, v42, v50 dst_sel:DWORD dst_unused:UNUSED_PAD src0_sel:DWORD src1_sel:WORD_1
	;; [unrolled: 1-line block ×10, first 2 shown]
	v_fma_f16 v1, v29, v48, -v1
	v_fma_f16 v29, v31, v57, -v47
	;; [unrolled: 1-line block ×6, first 2 shown]
	v_fma_f16 v32, v45, v57, v64
	v_fma_f16 v43, v43, v48, v65
	;; [unrolled: 1-line block ×6, first 2 shown]
	v_sub_f16_e32 v46, v1, v29
	v_sub_f16_e32 v47, v31, v27
	;; [unrolled: 1-line block ×3, first 2 shown]
	v_add_f16_e32 v49, v43, v32
	v_add_f16_e32 v51, v41, v44
	;; [unrolled: 1-line block ×5, first 2 shown]
	v_sub_f16_e32 v29, v43, v32
	v_sub_f16_e32 v30, v45, v42
	;; [unrolled: 1-line block ×3, first 2 shown]
	v_add_f16_e32 v50, v45, v42
	v_add_f16_e32 v45, v49, v51
	;; [unrolled: 1-line block ×3, first 2 shown]
	v_sub_f16_e32 v60, v29, v30
	v_sub_f16_e32 v61, v30, v31
	v_add_f16_e32 v30, v30, v31
	v_sub_f16_e32 v32, v46, v47
	v_sub_f16_e32 v41, v47, v48
	v_add_f16_e32 v42, v47, v48
	v_sub_f16_e32 v44, v50, v51
	v_sub_f16_e32 v47, v1, v27
	;; [unrolled: 1-line block ×3, first 2 shown]
	v_add_f16_e32 v45, v50, v45
	v_add_f16_e32 v27, v27, v57
	;; [unrolled: 1-line block ×3, first 2 shown]
	v_sub_f16_e32 v29, v31, v29
	v_sub_f16_e32 v43, v49, v50
	;; [unrolled: 1-line block ×4, first 2 shown]
	v_mul_f16_e32 v41, 0xb846, v41
	v_mul_f16_e32 v44, 0x2b26, v44
	v_mul_f16_e32 v50, 0x3a52, v47
	v_mul_f16_e32 v51, 0x2b26, v56
	v_mul_f16_e32 v56, 0xb846, v61
	v_add_f16_e32 v40, v40, v45
	v_add_f16_e32 v26, v26, v27
	v_sub_f16_e32 v1, v28, v1
	v_mul_f16_e32 v31, 0x3b00, v29
	v_add_f16_e32 v42, v46, v42
	v_mul_f16_e32 v46, 0x3a52, v43
	v_mul_f16_e32 v57, 0x3b00, v48
	v_fma_f16 v61, v32, s3, v41
	v_fma_f16 v43, v43, s12, v44
	;; [unrolled: 1-line block ×4, first 2 shown]
	v_fma_f16 v28, v1, s10, -v50
	v_fma_f16 v31, v60, s9, -v31
	;; [unrolled: 1-line block ×4, first 2 shown]
	v_fma_f16 v47, v47, s12, v51
	v_fma_f16 v62, v60, s3, v56
	v_fma_f16 v32, v32, s9, -v57
	v_fma_f16 v57, v42, s2, v61
	v_add_f16_e32 v43, v43, v45
	v_fma_f16 v46, v49, s10, -v46
	v_add_f16_e32 v28, v28, v27
	v_fma_f16 v31, v30, s2, v31
	v_fma_f16 v29, v30, s2, v29
	v_add_f16_e32 v1, v1, v27
	v_fma_f16 v61, v30, s2, v62
	v_fma_f16 v32, v42, s2, v32
	v_add_f16_e32 v47, v47, v27
	v_add_f16_e32 v62, v57, v43
	v_add_f16_e32 v46, v46, v45
	v_sub_f16_e32 v50, v28, v31
	v_fma_f16 v44, v49, s11, -v44
	v_add_f16_e32 v27, v29, v1
	v_sub_f16_e32 v29, v1, v29
	v_add_f16_e32 v28, v31, v28
	v_sub_f16_e32 v31, v43, v57
	s_waitcnt vmcnt(1)
	v_mul_f16_sdwa v1, v38, v52 dst_sel:DWORD dst_unused:UNUSED_PAD src0_sel:DWORD src1_sel:WORD_1
	s_waitcnt vmcnt(0)
	v_mul_f16_sdwa v43, v39, v59 dst_sel:DWORD dst_unused:UNUSED_PAD src0_sel:DWORD src1_sel:WORD_1
	v_mul_f16_sdwa v49, v35, v53 dst_sel:DWORD dst_unused:UNUSED_PAD src0_sel:DWORD src1_sel:WORD_1
	;; [unrolled: 1-line block ×3, first 2 shown]
	v_add_f16_e32 v64, v32, v46
	v_add_f16_e32 v44, v44, v45
	v_fma_f16 v41, v48, s8, -v41
	v_sub_f16_e32 v32, v46, v32
	v_fma_f16 v1, v18, v52, -v1
	v_fma_f16 v43, v19, v59, -v43
	v_mul_f16_sdwa v45, v34, v55 dst_sel:DWORD dst_unused:UNUSED_PAD src0_sel:DWORD src1_sel:WORD_1
	v_mul_f16_sdwa v46, v36, v54 dst_sel:DWORD dst_unused:UNUSED_PAD src0_sel:DWORD src1_sel:WORD_1
	v_fma_f16 v49, v15, v53, -v49
	v_fma_f16 v51, v17, v58, -v51
	v_mul_f16_sdwa v19, v19, v59 dst_sel:DWORD dst_unused:UNUSED_PAD src0_sel:DWORD src1_sel:WORD_1
	v_mul_f16_sdwa v18, v18, v52 dst_sel:DWORD dst_unused:UNUSED_PAD src0_sel:DWORD src1_sel:WORD_1
	;; [unrolled: 1-line block ×4, first 2 shown]
	v_fma_f16 v41, v42, s2, v41
	v_fma_f16 v45, v14, v55, -v45
	v_fma_f16 v46, v16, v54, -v46
	v_fma_f16 v19, v39, v59, v19
	v_fma_f16 v18, v38, v52, v18
	v_mul_f16_sdwa v16, v16, v54 dst_sel:DWORD dst_unused:UNUSED_PAD src0_sel:DWORD src1_sel:WORD_1
	v_mul_f16_sdwa v14, v14, v55 dst_sel:DWORD dst_unused:UNUSED_PAD src0_sel:DWORD src1_sel:WORD_1
	v_fma_f16 v17, v37, v58, v17
	v_fma_f16 v15, v35, v53, v15
	v_sub_f16_e32 v42, v44, v41
	v_add_f16_e32 v30, v41, v44
	v_sub_f16_e32 v44, v1, v43
	v_sub_f16_e32 v56, v49, v51
	v_add_f16_e32 v38, v18, v19
	v_fma_f16 v16, v36, v54, v16
	v_fma_f16 v14, v34, v55, v14
	v_add_f16_e32 v35, v15, v17
	v_add_f16_e32 v1, v1, v43
	;; [unrolled: 1-line block ×7, first 2 shown]
	v_sub_f16_e32 v18, v18, v19
	v_sub_f16_e32 v14, v14, v16
	;; [unrolled: 1-line block ×4, first 2 shown]
	v_add_f16_e32 v41, v61, v47
	v_sub_f16_e32 v47, v45, v46
	v_sub_f16_e32 v36, v38, v34
	;; [unrolled: 1-line block ×3, first 2 shown]
	v_add_f16_e32 v34, v34, v52
	v_sub_f16_e32 v45, v1, v43
	v_sub_f16_e32 v51, v43, v49
	v_add_f16_e32 v43, v43, v53
	v_sub_f16_e32 v16, v18, v14
	v_sub_f16_e32 v17, v14, v15
	;; [unrolled: 3-line block ×3, first 2 shown]
	v_sub_f16_e32 v57, v47, v56
	v_add_f16_e32 v47, v47, v56
	v_mul_f16_e32 v39, 0x3a52, v36
	v_mul_f16_e32 v37, 0x2b26, v37
	v_add_f16_e32 v33, v33, v34
	v_mul_f16_e32 v46, 0x3a52, v45
	v_mul_f16_e32 v51, 0x2b26, v51
	v_add_f16_e32 v13, v13, v43
	v_mul_f16_e32 v17, 0xb846, v17
	v_add_f16_e32 v14, v18, v14
	v_sub_f16_e32 v35, v35, v38
	v_sub_f16_e32 v1, v49, v1
	v_mul_f16_e32 v18, 0x3b00, v15
	v_mul_f16_e32 v57, 0xb846, v57
	v_add_f16_e32 v47, v44, v47
	v_fma_f16 v36, v36, s12, v37
	v_fma_f16 v34, v34, s6, v33
	;; [unrolled: 1-line block ×4, first 2 shown]
	v_sub_f16_e32 v44, v56, v44
	v_fma_f16 v38, v35, s10, -v39
	v_fma_f16 v46, v1, s10, -v46
	v_fma_f16 v16, v16, s9, -v18
	v_fma_f16 v35, v35, s11, -v37
	v_fma_f16 v15, v15, s8, -v17
	v_fma_f16 v1, v1, s11, -v51
	v_fma_f16 v60, v48, s3, v57
	v_add_f16_e32 v36, v36, v34
	v_fma_f16 v45, v45, s12, v51
	v_fma_f16 v19, v14, s2, v19
	v_mul_f16_e32 v54, 0x3b00, v44
	v_add_f16_e32 v38, v38, v34
	v_fma_f16 v16, v14, s2, v16
	v_add_f16_e32 v34, v35, v34
	v_fma_f16 v35, v44, s8, -v57
	v_fma_f16 v14, v14, s2, v15
	v_add_f16_e32 v1, v1, v43
	v_fma_f16 v60, v47, s2, v60
	v_add_f16_e32 v45, v45, v43
	v_fma_f16 v48, v48, s9, -v54
	v_fma_f16 v35, v47, s2, v35
	v_add_f16_e32 v15, v14, v1
	v_sub_f16_e32 v14, v1, v14
	v_mov_b32_e32 v1, 0
	v_sub_f16_e32 v53, v45, v19
	v_fma_f16 v48, v47, s2, v48
	v_add_f16_e32 v46, v46, v43
	v_sub_f16_e32 v37, v34, v35
	v_add_f16_e32 v17, v35, v34
	v_sub_f16_e32 v35, v36, v60
	v_add_f16_e32 v19, v19, v45
	v_lshl_add_u64 v[2:3], v[0:1], 2, v[2:3]
	v_pack_b32_f16 v13, v13, v33
	v_sub_f16_e32 v18, v46, v16
	v_sub_f16_e32 v34, v38, v48
	v_add_f16_e32 v16, v16, v46
	global_store_dword v[2:3], v13, off
	v_pack_b32_f16 v13, v19, v35
	global_store_dword v[2:3], v13, off offset:540
	v_pack_b32_f16 v13, v16, v34
	global_store_dword v[2:3], v13, off offset:1080
	v_pack_b32_f16 v13, v14, v17
	v_add_f16_e32 v39, v48, v38
	global_store_dword v[2:3], v13, off offset:1620
	v_pack_b32_f16 v13, v15, v37
	v_add_f16_e32 v52, v60, v36
	global_store_dword v[2:3], v13, off offset:2160
	v_pack_b32_f16 v13, v18, v39
	global_store_dword v[2:3], v13, off offset:2700
	v_pack_b32_f16 v13, v53, v52
	;; [unrolled: 2-line block ×9, first 2 shown]
	global_store_dword v[2:3], v13, off offset:3492
	s_and_b64 exec, exec, s[0:1]
	s_cbranch_execz .LBB0_18
; %bb.17:
	v_add_u32_e32 v0, -9, v0
	v_cndmask_b32_e64 v0, v0, v4, s[0:1]
	v_mul_i32_i24_e32 v0, 6, v0
	v_lshl_add_u64 v[0:1], v[0:1], 2, s[4:5]
	global_load_dwordx4 v[14:17], v[0:1], off offset:528
	global_load_dwordx2 v[18:19], v[0:1], off offset:544
	s_waitcnt vmcnt(1)
	v_mul_f16_sdwa v0, v22, v14 dst_sel:DWORD dst_unused:UNUSED_PAD src0_sel:DWORD src1_sel:WORD_1
	v_mul_f16_sdwa v1, v8, v14 dst_sel:DWORD dst_unused:UNUSED_PAD src0_sel:DWORD src1_sel:WORD_1
	;; [unrolled: 1-line block ×4, first 2 shown]
	s_waitcnt vmcnt(0)
	v_mul_f16_sdwa v30, v24, v18 dst_sel:DWORD dst_unused:UNUSED_PAD src0_sel:DWORD src1_sel:WORD_1
	v_mul_f16_sdwa v31, v10, v18 dst_sel:DWORD dst_unused:UNUSED_PAD src0_sel:DWORD src1_sel:WORD_1
	;; [unrolled: 1-line block ×8, first 2 shown]
	v_fma_f16 v0, v8, v14, -v0
	v_fma_f16 v1, v22, v14, v1
	v_fma_f16 v4, v9, v15, -v4
	v_fma_f16 v8, v23, v15, v13
	;; [unrolled: 2-line block ×6, first 2 shown]
	v_add_f16_e32 v16, v0, v6
	v_add_f16_e32 v17, v1, v15
	v_sub_f16_e32 v0, v0, v6
	v_sub_f16_e32 v1, v1, v15
	v_add_f16_e32 v6, v4, v10
	v_add_f16_e32 v15, v8, v14
	v_sub_f16_e32 v4, v4, v10
	v_sub_f16_e32 v8, v8, v14
	;; [unrolled: 4-line block ×4, first 2 shown]
	v_sub_f16_e32 v16, v16, v10
	v_sub_f16_e32 v17, v17, v14
	;; [unrolled: 1-line block ×4, first 2 shown]
	v_add_f16_e32 v20, v7, v4
	v_add_f16_e32 v21, v9, v8
	v_sub_f16_e32 v22, v7, v4
	v_sub_f16_e32 v23, v9, v8
	v_add_f16_e32 v10, v10, v11
	v_add_f16_e32 v11, v14, v13
	v_sub_f16_e32 v7, v0, v7
	v_sub_f16_e32 v9, v1, v9
	;; [unrolled: 1-line block ×4, first 2 shown]
	v_add_f16_e32 v0, v20, v0
	v_add_f16_e32 v1, v21, v1
	v_mul_f16_e32 v13, 0x3a52, v16
	v_mul_f16_e32 v14, 0x3a52, v17
	v_mul_f16_e32 v16, 0x2b26, v6
	v_mul_f16_e32 v17, 0x2b26, v15
	v_mul_f16_e32 v20, 0xb846, v22
	v_mul_f16_e32 v21, 0xb846, v23
	v_add_f16_e32 v5, v5, v10
	v_add_f16_e32 v12, v12, v11
	v_mul_f16_e32 v22, 0x3b00, v4
	v_mul_f16_e32 v23, 0x3b00, v8
	v_fma_f16 v6, v6, s7, v13
	v_fma_f16 v15, v15, s7, v14
	v_fma_f16 v16, v18, s11, -v16
	v_fma_f16 v17, v19, s11, -v17
	;; [unrolled: 1-line block ×4, first 2 shown]
	v_fma_f16 v18, v7, s3, v20
	v_fma_f16 v19, v9, s3, v21
	v_fma_f16 v10, v10, s6, v5
	v_fma_f16 v11, v11, s6, v12
	v_fma_f16 v4, v4, s8, -v20
	v_fma_f16 v8, v8, s8, -v21
	v_fma_f16 v7, v7, s9, -v22
	v_fma_f16 v9, v9, s9, -v23
	v_add_f16_e32 v6, v6, v10
	v_add_f16_e32 v15, v15, v11
	;; [unrolled: 1-line block ×6, first 2 shown]
	v_fma_f16 v13, v0, s2, v18
	v_fma_f16 v14, v1, s2, v19
	v_fma_f16 v4, v0, s2, v4
	v_fma_f16 v8, v1, s2, v8
	v_fma_f16 v0, v0, s2, v7
	v_fma_f16 v1, v1, s2, v9
	v_add_f16_e32 v7, v14, v6
	v_sub_f16_e32 v9, v15, v13
	v_pack_b32_f16 v5, v5, v12
	v_add_f16_e32 v18, v1, v10
	v_sub_f16_e32 v19, v11, v0
	v_sub_f16_e32 v1, v10, v1
	v_add_f16_e32 v0, v0, v11
	global_store_dword v[2:3], v5, off offset:504
	v_pack_b32_f16 v5, v7, v9
	v_sub_f16_e32 v20, v16, v8
	v_add_f16_e32 v21, v4, v17
	v_add_f16_e32 v8, v8, v16
	v_sub_f16_e32 v4, v17, v4
	v_sub_f16_e32 v6, v6, v14
	v_add_f16_e32 v10, v13, v15
	global_store_dword v[2:3], v5, off offset:1044
	v_pack_b32_f16 v5, v18, v19
	v_pack_b32_f16 v0, v1, v0
	global_store_dword v[2:3], v5, off offset:1584
	v_pack_b32_f16 v5, v20, v21
	v_pack_b32_f16 v4, v8, v4
	global_store_dword v[2:3], v0, off offset:3204
	v_pack_b32_f16 v0, v6, v10
	global_store_dword v[2:3], v5, off offset:2124
	global_store_dword v[2:3], v4, off offset:2664
	;; [unrolled: 1-line block ×3, first 2 shown]
.LBB0_18:
	s_endpgm
	.section	.rodata,"a",@progbits
	.p2align	6, 0x0
	.amdhsa_kernel fft_rtc_fwd_len945_factors_3_3_3_5_7_wgs_63_tpt_63_halfLds_half_ip_CI_unitstride_sbrr_dirReg
		.amdhsa_group_segment_fixed_size 0
		.amdhsa_private_segment_fixed_size 0
		.amdhsa_kernarg_size 88
		.amdhsa_user_sgpr_count 2
		.amdhsa_user_sgpr_dispatch_ptr 0
		.amdhsa_user_sgpr_queue_ptr 0
		.amdhsa_user_sgpr_kernarg_segment_ptr 1
		.amdhsa_user_sgpr_dispatch_id 0
		.amdhsa_user_sgpr_kernarg_preload_length 0
		.amdhsa_user_sgpr_kernarg_preload_offset 0
		.amdhsa_user_sgpr_private_segment_size 0
		.amdhsa_uses_dynamic_stack 0
		.amdhsa_enable_private_segment 0
		.amdhsa_system_sgpr_workgroup_id_x 1
		.amdhsa_system_sgpr_workgroup_id_y 0
		.amdhsa_system_sgpr_workgroup_id_z 0
		.amdhsa_system_sgpr_workgroup_info 0
		.amdhsa_system_vgpr_workitem_id 0
		.amdhsa_next_free_vgpr 70
		.amdhsa_next_free_sgpr 22
		.amdhsa_accum_offset 72
		.amdhsa_reserve_vcc 1
		.amdhsa_float_round_mode_32 0
		.amdhsa_float_round_mode_16_64 0
		.amdhsa_float_denorm_mode_32 3
		.amdhsa_float_denorm_mode_16_64 3
		.amdhsa_dx10_clamp 1
		.amdhsa_ieee_mode 1
		.amdhsa_fp16_overflow 0
		.amdhsa_tg_split 0
		.amdhsa_exception_fp_ieee_invalid_op 0
		.amdhsa_exception_fp_denorm_src 0
		.amdhsa_exception_fp_ieee_div_zero 0
		.amdhsa_exception_fp_ieee_overflow 0
		.amdhsa_exception_fp_ieee_underflow 0
		.amdhsa_exception_fp_ieee_inexact 0
		.amdhsa_exception_int_div_zero 0
	.end_amdhsa_kernel
	.text
.Lfunc_end0:
	.size	fft_rtc_fwd_len945_factors_3_3_3_5_7_wgs_63_tpt_63_halfLds_half_ip_CI_unitstride_sbrr_dirReg, .Lfunc_end0-fft_rtc_fwd_len945_factors_3_3_3_5_7_wgs_63_tpt_63_halfLds_half_ip_CI_unitstride_sbrr_dirReg
                                        ; -- End function
	.section	.AMDGPU.csdata,"",@progbits
; Kernel info:
; codeLenInByte = 10156
; NumSgprs: 28
; NumVgprs: 70
; NumAgprs: 0
; TotalNumVgprs: 70
; ScratchSize: 0
; MemoryBound: 0
; FloatMode: 240
; IeeeMode: 1
; LDSByteSize: 0 bytes/workgroup (compile time only)
; SGPRBlocks: 3
; VGPRBlocks: 8
; NumSGPRsForWavesPerEU: 28
; NumVGPRsForWavesPerEU: 70
; AccumOffset: 72
; Occupancy: 7
; WaveLimiterHint : 1
; COMPUTE_PGM_RSRC2:SCRATCH_EN: 0
; COMPUTE_PGM_RSRC2:USER_SGPR: 2
; COMPUTE_PGM_RSRC2:TRAP_HANDLER: 0
; COMPUTE_PGM_RSRC2:TGID_X_EN: 1
; COMPUTE_PGM_RSRC2:TGID_Y_EN: 0
; COMPUTE_PGM_RSRC2:TGID_Z_EN: 0
; COMPUTE_PGM_RSRC2:TIDIG_COMP_CNT: 0
; COMPUTE_PGM_RSRC3_GFX90A:ACCUM_OFFSET: 17
; COMPUTE_PGM_RSRC3_GFX90A:TG_SPLIT: 0
	.text
	.p2alignl 6, 3212836864
	.fill 256, 4, 3212836864
	.type	__hip_cuid_9d0e0811c2559f12,@object ; @__hip_cuid_9d0e0811c2559f12
	.section	.bss,"aw",@nobits
	.globl	__hip_cuid_9d0e0811c2559f12
__hip_cuid_9d0e0811c2559f12:
	.byte	0                               ; 0x0
	.size	__hip_cuid_9d0e0811c2559f12, 1

	.ident	"AMD clang version 19.0.0git (https://github.com/RadeonOpenCompute/llvm-project roc-6.4.0 25133 c7fe45cf4b819c5991fe208aaa96edf142730f1d)"
	.section	".note.GNU-stack","",@progbits
	.addrsig
	.addrsig_sym __hip_cuid_9d0e0811c2559f12
	.amdgpu_metadata
---
amdhsa.kernels:
  - .agpr_count:     0
    .args:
      - .actual_access:  read_only
        .address_space:  global
        .offset:         0
        .size:           8
        .value_kind:     global_buffer
      - .offset:         8
        .size:           8
        .value_kind:     by_value
      - .actual_access:  read_only
        .address_space:  global
        .offset:         16
        .size:           8
        .value_kind:     global_buffer
      - .actual_access:  read_only
        .address_space:  global
        .offset:         24
        .size:           8
        .value_kind:     global_buffer
      - .offset:         32
        .size:           8
        .value_kind:     by_value
      - .actual_access:  read_only
        .address_space:  global
        .offset:         40
        .size:           8
        .value_kind:     global_buffer
      - .actual_access:  read_only
        .address_space:  global
        .offset:         48
        .size:           8
        .value_kind:     global_buffer
      - .offset:         56
        .size:           4
        .value_kind:     by_value
      - .actual_access:  read_only
        .address_space:  global
        .offset:         64
        .size:           8
        .value_kind:     global_buffer
      - .actual_access:  read_only
        .address_space:  global
        .offset:         72
        .size:           8
        .value_kind:     global_buffer
      - .address_space:  global
        .offset:         80
        .size:           8
        .value_kind:     global_buffer
    .group_segment_fixed_size: 0
    .kernarg_segment_align: 8
    .kernarg_segment_size: 88
    .language:       OpenCL C
    .language_version:
      - 2
      - 0
    .max_flat_workgroup_size: 63
    .name:           fft_rtc_fwd_len945_factors_3_3_3_5_7_wgs_63_tpt_63_halfLds_half_ip_CI_unitstride_sbrr_dirReg
    .private_segment_fixed_size: 0
    .sgpr_count:     28
    .sgpr_spill_count: 0
    .symbol:         fft_rtc_fwd_len945_factors_3_3_3_5_7_wgs_63_tpt_63_halfLds_half_ip_CI_unitstride_sbrr_dirReg.kd
    .uniform_work_group_size: 1
    .uses_dynamic_stack: false
    .vgpr_count:     70
    .vgpr_spill_count: 0
    .wavefront_size: 64
amdhsa.target:   amdgcn-amd-amdhsa--gfx950
amdhsa.version:
  - 1
  - 2
...

	.end_amdgpu_metadata
